;; amdgpu-corpus repo=ROCm/rocFFT kind=compiled arch=gfx90a opt=O3
	.text
	.amdgcn_target "amdgcn-amd-amdhsa--gfx90a"
	.amdhsa_code_object_version 6
	.protected	fft_rtc_fwd_len128_factors_8_2_8_wgs_128_tpt_16_dim1_dp_ip_CI_unitstride_sbrr_R2C_dirReg ; -- Begin function fft_rtc_fwd_len128_factors_8_2_8_wgs_128_tpt_16_dim1_dp_ip_CI_unitstride_sbrr_R2C_dirReg
	.globl	fft_rtc_fwd_len128_factors_8_2_8_wgs_128_tpt_16_dim1_dp_ip_CI_unitstride_sbrr_R2C_dirReg
	.p2align	8
	.type	fft_rtc_fwd_len128_factors_8_2_8_wgs_128_tpt_16_dim1_dp_ip_CI_unitstride_sbrr_R2C_dirReg,@function
fft_rtc_fwd_len128_factors_8_2_8_wgs_128_tpt_16_dim1_dp_ip_CI_unitstride_sbrr_R2C_dirReg: ; @fft_rtc_fwd_len128_factors_8_2_8_wgs_128_tpt_16_dim1_dp_ip_CI_unitstride_sbrr_R2C_dirReg
; %bb.0:
	s_load_dwordx4 s[12:15], s[4:5], 0x10
	s_load_dwordx2 s[8:9], s[4:5], 0x0
	v_lshrrev_b32_e32 v12, 4, v0
	v_lshl_or_b32 v6, s6, 3, v12
	v_mov_b32_e32 v7, 0
	s_waitcnt lgkmcnt(0)
	s_load_dwordx2 s[0:1], s[12:13], 0x8
	s_load_dwordx2 s[2:3], s[4:5], 0x48
	v_and_b32_e32 v16, 15, v0
	v_cmp_gt_u64_e32 vcc, s[14:15], v[6:7]
	v_or_b32_e32 v8, 16, v16
	s_waitcnt lgkmcnt(0)
	v_mad_u64_u32 v[2:3], s[4:5], s0, v6, 0
	v_mov_b32_e32 v4, v3
	v_mad_u64_u32 v[4:5], s[0:1], s1, v6, v[4:5]
	v_cmp_le_u64_e64 s[0:1], s[14:15], v[6:7]
	v_or_b32_e32 v10, 32, v16
	v_or_b32_e32 v6, 48, v16
	;; [unrolled: 1-line block ×3, first 2 shown]
                                        ; implicit-def: $vgpr11
                                        ; implicit-def: $vgpr9
                                        ; implicit-def: $vgpr7
	s_and_saveexec_b64 s[4:5], s[0:1]
	s_xor_b64 s[0:1], exec, s[4:5]
; %bb.1:
	v_or_b32_e32 v8, 16, v16
	v_or_b32_e32 v10, 32, v16
	;; [unrolled: 1-line block ×7, first 2 shown]
; %bb.2:
	s_or_saveexec_b64 s[4:5], s[0:1]
	v_mov_b32_e32 v3, v4
	v_mul_u32_u24_e32 v12, 0x81, v12
	v_lshlrev_b64 v[4:5], 4, v[2:3]
	v_lshlrev_b32_e32 v17, 4, v16
	v_lshlrev_b32_e32 v2, 4, v12
	s_xor_b64 exec, exec, s[4:5]
	s_cbranch_execz .LBB0_4
; %bb.3:
	v_mov_b32_e32 v3, s3
	v_add_co_u32_e64 v7, s[0:1], s2, v4
	v_addc_co_u32_e64 v3, s[0:1], v3, v5, s[0:1]
	v_add_co_u32_e64 v46, s[0:1], v7, v17
	v_addc_co_u32_e64 v47, s[0:1], 0, v3, s[0:1]
	global_load_dwordx4 v[12:15], v[46:47], off
	global_load_dwordx4 v[18:21], v[46:47], off offset:256
	global_load_dwordx4 v[22:25], v[46:47], off offset:512
	;; [unrolled: 1-line block ×7, first 2 shown]
	v_add3_u32 v3, 0, v2, v17
	v_or_b32_e32 v11, 0x50, v16
	v_or_b32_e32 v9, 0x60, v16
	;; [unrolled: 1-line block ×3, first 2 shown]
	s_waitcnt vmcnt(7)
	ds_write_b128 v3, v[12:15]
	s_waitcnt vmcnt(6)
	ds_write_b128 v3, v[18:21] offset:256
	s_waitcnt vmcnt(5)
	ds_write_b128 v3, v[22:25] offset:512
	;; [unrolled: 2-line block ×7, first 2 shown]
.LBB0_4:
	s_or_b64 exec, exec, s[4:5]
	v_add_u32_e32 v19, 0, v2
	v_add_u32_e32 v18, v19, v17
	s_waitcnt lgkmcnt(0)
	s_barrier
	v_add3_u32 v2, 0, v17, v2
	ds_read_b128 v[12:15], v18
	ds_read_b128 v[20:23], v2 offset:256
	ds_read_b128 v[24:27], v2 offset:1024
	;; [unrolled: 1-line block ×7, first 2 shown]
	s_waitcnt lgkmcnt(5)
	v_add_f64 v[24:25], v[12:13], -v[24:25]
	v_add_f64 v[26:27], v[14:15], -v[26:27]
	s_waitcnt lgkmcnt(2)
	v_add_f64 v[36:37], v[20:21], -v[36:37]
	s_waitcnt lgkmcnt(1)
	v_add_f64 v[40:41], v[28:29], -v[40:41]
	v_add_f64 v[42:43], v[30:31], -v[42:43]
	;; [unrolled: 1-line block ×3, first 2 shown]
	s_waitcnt lgkmcnt(0)
	v_add_f64 v[44:45], v[32:33], -v[44:45]
	v_add_f64 v[46:47], v[34:35], -v[46:47]
	v_fma_f64 v[12:13], v[12:13], 2.0, -v[24:25]
	v_fma_f64 v[14:15], v[14:15], 2.0, -v[26:27]
	;; [unrolled: 1-line block ×8, first 2 shown]
	v_add_f64 v[52:53], v[24:25], -v[42:43]
	v_add_f64 v[54:55], v[26:27], v[40:41]
	v_add_f64 v[46:47], v[36:37], -v[46:47]
	v_add_f64 v[44:45], v[38:39], v[44:45]
	s_mov_b32 s0, 0x667f3bcd
	v_add_f64 v[48:49], v[12:13], -v[28:29]
	v_add_f64 v[50:51], v[14:15], -v[30:31]
	v_fma_f64 v[40:41], v[24:25], 2.0, -v[52:53]
	v_fma_f64 v[42:43], v[26:27], 2.0, -v[54:55]
	v_add_f64 v[56:57], v[20:21], -v[32:33]
	v_add_f64 v[32:33], v[22:23], -v[34:35]
	v_fma_f64 v[34:35], v[36:37], 2.0, -v[46:47]
	v_fma_f64 v[36:37], v[38:39], 2.0, -v[44:45]
	s_mov_b32 s1, 0xbfe6a09e
	v_fma_f64 v[28:29], v[12:13], 2.0, -v[48:49]
	v_fma_f64 v[30:31], v[14:15], 2.0, -v[50:51]
	;; [unrolled: 1-line block ×4, first 2 shown]
	v_fma_f64 v[24:25], s[0:1], v[34:35], v[40:41]
	v_fma_f64 v[26:27], s[0:1], v[36:37], v[42:43]
	s_mov_b32 s5, 0x3fe6a09e
	s_mov_b32 s4, s0
	v_add_f64 v[12:13], v[28:29], -v[12:13]
	v_add_f64 v[14:15], v[30:31], -v[14:15]
	v_fmac_f64_e32 v[24:25], s[0:1], v[36:37]
	v_fmac_f64_e32 v[26:27], s[4:5], v[34:35]
	v_fma_f64 v[20:21], v[28:29], 2.0, -v[12:13]
	v_fma_f64 v[22:23], v[30:31], 2.0, -v[14:15]
	;; [unrolled: 1-line block ×4, first 2 shown]
	v_fma_f64 v[40:41], s[4:5], v[46:47], v[52:53]
	v_fma_f64 v[42:43], s[4:5], v[44:45], v[54:55]
	s_movk_i32 s6, 0x70
	v_add_f64 v[32:33], v[48:49], -v[32:33]
	v_add_f64 v[34:35], v[50:51], v[56:57]
	v_fmac_f64_e32 v[40:41], s[0:1], v[44:45]
	v_fmac_f64_e32 v[42:43], s[4:5], v[46:47]
	v_mad_u32_u24 v3, v16, s6, v2
	v_fma_f64 v[36:37], v[48:49], 2.0, -v[32:33]
	v_fma_f64 v[38:39], v[50:51], 2.0, -v[34:35]
	;; [unrolled: 1-line block ×4, first 2 shown]
	s_barrier
	ds_write_b128 v3, v[20:23]
	ds_write_b128 v3, v[28:31] offset:16
	ds_write_b128 v3, v[36:39] offset:32
	;; [unrolled: 1-line block ×7, first 2 shown]
	v_and_b32_e32 v3, 7, v0
	v_lshlrev_b32_e32 v12, 4, v3
	s_waitcnt lgkmcnt(0)
	s_barrier
	global_load_dwordx4 v[12:15], v12, s[8:9]
	ds_read_b128 v[24:27], v18
	ds_read_b128 v[28:31], v2 offset:1024
	ds_read_b128 v[32:35], v2 offset:1280
	;; [unrolled: 1-line block ×3, first 2 shown]
	v_lshl_add_u32 v21, v10, 4, v19
	v_lshl_add_u32 v22, v8, 4, v19
	v_lshl_add_u32 v20, v6, 4, v19
	ds_read_b128 v[40:43], v21
	ds_read_b128 v[44:47], v20
	ds_read_b128 v[48:51], v22
	ds_read_b128 v[52:55], v2 offset:1792
	v_lshlrev_b32_e32 v0, 1, v0
	v_and_or_b32 v0, v0, 16, v3
	v_lshl_add_u32 v0, v0, 4, v19
	s_waitcnt lgkmcnt(0)
	s_barrier
	s_movk_i32 s7, 0x50
	v_sub_u32_e32 v23, v19, v17
	s_waitcnt vmcnt(0)
	v_mul_f64 v[56:57], v[30:31], v[14:15]
	v_fma_f64 v[56:57], v[28:29], v[12:13], -v[56:57]
	v_mul_f64 v[28:29], v[28:29], v[14:15]
	v_fmac_f64_e32 v[28:29], v[30:31], v[12:13]
	v_mul_f64 v[30:31], v[34:35], v[14:15]
	v_fma_f64 v[30:31], v[32:33], v[12:13], -v[30:31]
	v_mul_f64 v[32:33], v[32:33], v[14:15]
	v_fmac_f64_e32 v[32:33], v[34:35], v[12:13]
	v_mul_f64 v[34:35], v[38:39], v[14:15]
	v_fma_f64 v[58:59], v[36:37], v[12:13], -v[34:35]
	v_mul_f64 v[34:35], v[54:55], v[14:15]
	v_mul_f64 v[60:61], v[36:37], v[14:15]
	v_fma_f64 v[62:63], v[52:53], v[12:13], -v[34:35]
	v_mul_f64 v[52:53], v[52:53], v[14:15]
	v_fmac_f64_e32 v[60:61], v[38:39], v[12:13]
	v_fmac_f64_e32 v[52:53], v[54:55], v[12:13]
	v_add_f64 v[12:13], v[24:25], -v[56:57]
	v_add_f64 v[14:15], v[26:27], -v[28:29]
	v_fma_f64 v[24:25], v[24:25], 2.0, -v[12:13]
	v_fma_f64 v[26:27], v[26:27], 2.0, -v[14:15]
	ds_write_b128 v0, v[24:27]
	ds_write_b128 v0, v[12:15] offset:128
	v_lshlrev_b32_e32 v0, 1, v8
	v_add_f64 v[28:29], v[48:49], -v[30:31]
	v_add_f64 v[30:31], v[50:51], -v[32:33]
	v_and_or_b32 v0, v0, 48, v3
	v_fma_f64 v[32:33], v[48:49], 2.0, -v[28:29]
	v_fma_f64 v[34:35], v[50:51], 2.0, -v[30:31]
	v_lshl_add_u32 v0, v0, 4, v19
	ds_write_b128 v0, v[32:35]
	ds_write_b128 v0, v[28:31] offset:128
	v_lshlrev_b32_e32 v0, 1, v10
	v_add_f64 v[36:37], v[40:41], -v[58:59]
	v_add_f64 v[38:39], v[42:43], -v[60:61]
	v_and_or_b32 v0, v0, s7, v3
	v_fma_f64 v[40:41], v[40:41], 2.0, -v[36:37]
	v_fma_f64 v[42:43], v[42:43], 2.0, -v[38:39]
	v_lshl_add_u32 v0, v0, 4, v19
	;; [unrolled: 9-line block ×3, first 2 shown]
	ds_write_b128 v0, v[44:47]
	ds_write_b128 v0, v[48:51] offset:128
	v_mul_u32_u24_e32 v0, 7, v16
	v_lshlrev_b32_e32 v0, 4, v0
	s_waitcnt lgkmcnt(0)
	s_barrier
	global_load_dwordx4 v[12:15], v0, s[8:9] offset:128
	global_load_dwordx4 v[24:27], v0, s[8:9] offset:144
	;; [unrolled: 1-line block ×5, first 2 shown]
	ds_read_b128 v[40:43], v22
	ds_read_b128 v[52:55], v21
	global_load_dwordx4 v[44:47], v0, s[8:9] offset:208
	ds_read_b128 v[48:51], v2 offset:1792
	s_waitcnt vmcnt(5) lgkmcnt(2)
	v_mul_f64 v[56:57], v[42:43], v[14:15]
	v_mul_f64 v[58:59], v[40:41], v[14:15]
	v_fma_f64 v[40:41], v[40:41], v[12:13], -v[56:57]
	v_fmac_f64_e32 v[58:59], v[42:43], v[12:13]
	ds_read_b128 v[12:15], v20
	s_waitcnt vmcnt(4) lgkmcnt(2)
	v_mul_f64 v[42:43], v[54:55], v[26:27]
	v_mul_f64 v[56:57], v[52:53], v[26:27]
	v_fma_f64 v[42:43], v[52:53], v[24:25], -v[42:43]
	v_fmac_f64_e32 v[56:57], v[54:55], v[24:25]
	ds_read_b128 v[24:27], v2 offset:1024
	s_waitcnt vmcnt(3) lgkmcnt(1)
	v_mul_f64 v[52:53], v[14:15], v[30:31]
	v_mul_f64 v[30:31], v[12:13], v[30:31]
	v_fma_f64 v[52:53], v[12:13], v[28:29], -v[52:53]
	v_fmac_f64_e32 v[30:31], v[14:15], v[28:29]
	ds_read_b128 v[12:15], v2 offset:1280
	s_waitcnt vmcnt(2) lgkmcnt(1)
	v_mul_f64 v[28:29], v[26:27], v[34:35]
	v_mul_f64 v[34:35], v[24:25], v[34:35]
	v_fma_f64 v[28:29], v[24:25], v[32:33], -v[28:29]
	v_fmac_f64_e32 v[34:35], v[26:27], v[32:33]
	s_waitcnt vmcnt(1) lgkmcnt(0)
	v_mul_f64 v[32:33], v[14:15], v[38:39]
	v_mul_f64 v[38:39], v[12:13], v[38:39]
	v_fma_f64 v[32:33], v[12:13], v[36:37], -v[32:33]
	v_fmac_f64_e32 v[38:39], v[14:15], v[36:37]
	global_load_dwordx4 v[12:15], v0, s[8:9] offset:224
	ds_read_b128 v[24:27], v2 offset:1536
	v_add_f64 v[38:39], v[58:59], -v[38:39]
	v_add_f64 v[32:33], v[40:41], -v[32:33]
	v_fma_f64 v[40:41], v[40:41], 2.0, -v[32:33]
	v_lshl_add_u32 v0, v1, 4, v19
	s_waitcnt vmcnt(1) lgkmcnt(0)
	v_mul_f64 v[36:37], v[26:27], v[46:47]
	v_mul_f64 v[46:47], v[24:25], v[46:47]
	v_fma_f64 v[36:37], v[24:25], v[44:45], -v[36:37]
	v_fmac_f64_e32 v[46:47], v[26:27], v[44:45]
	ds_read_b128 v[24:27], v18
	s_waitcnt lgkmcnt(0)
	s_barrier
	s_waitcnt vmcnt(0)
	v_mul_f64 v[44:45], v[50:51], v[14:15]
	v_mul_f64 v[14:15], v[48:49], v[14:15]
	v_fmac_f64_e32 v[14:15], v[50:51], v[12:13]
	v_add_f64 v[14:15], v[30:31], -v[14:15]
	v_fma_f64 v[44:45], v[48:49], v[12:13], -v[44:45]
	v_add_f64 v[12:13], v[24:25], -v[28:29]
	v_add_f64 v[28:29], v[26:27], -v[34:35]
	;; [unrolled: 1-line block ×4, first 2 shown]
	v_fma_f64 v[48:49], v[58:59], 2.0, -v[38:39]
	v_fma_f64 v[30:31], v[30:31], 2.0, -v[14:15]
	v_fma_f64 v[26:27], v[26:27], 2.0, -v[28:29]
	v_fma_f64 v[46:47], v[56:57], 2.0, -v[36:37]
	v_add_f64 v[44:45], v[52:53], -v[44:45]
	v_add_f64 v[54:55], v[28:29], v[34:35]
	v_add_f64 v[56:57], v[48:49], -v[30:31]
	v_fma_f64 v[50:51], v[52:53], 2.0, -v[44:45]
	v_add_f64 v[46:47], v[26:27], -v[46:47]
	v_add_f64 v[52:53], v[12:13], -v[36:37]
	v_fma_f64 v[36:37], v[28:29], 2.0, -v[54:55]
	v_fma_f64 v[28:29], v[48:49], 2.0, -v[56:57]
	v_add_f64 v[48:49], v[32:33], -v[14:15]
	v_add_f64 v[58:59], v[38:39], v[44:45]
	v_fma_f64 v[42:43], v[42:43], 2.0, -v[34:35]
	v_fma_f64 v[26:27], v[26:27], 2.0, -v[46:47]
	;; [unrolled: 1-line block ×6, first 2 shown]
	v_add_f64 v[14:15], v[26:27], -v[28:29]
	v_fma_f64 v[28:29], s[0:1], v[32:33], v[34:35]
	v_fma_f64 v[30:31], s[0:1], v[38:39], v[36:37]
	v_add_f64 v[42:43], v[24:25], -v[42:43]
	v_add_f64 v[50:51], v[40:41], -v[50:51]
	v_fmac_f64_e32 v[28:29], s[0:1], v[38:39]
	v_fmac_f64_e32 v[30:31], s[4:5], v[32:33]
	v_fma_f64 v[24:25], v[24:25], 2.0, -v[42:43]
	v_fma_f64 v[12:13], v[40:41], 2.0, -v[50:51]
	;; [unrolled: 1-line block ×4, first 2 shown]
	v_add_f64 v[36:37], v[42:43], -v[56:57]
	v_add_f64 v[38:39], v[46:47], v[50:51]
	v_add_f64 v[12:13], v[24:25], -v[12:13]
	v_fma_f64 v[40:41], v[42:43], 2.0, -v[36:37]
	v_fma_f64 v[42:43], v[46:47], 2.0, -v[38:39]
	v_fma_f64 v[44:45], s[4:5], v[48:49], v[52:53]
	v_fma_f64 v[46:47], s[4:5], v[58:59], v[54:55]
	v_fma_f64 v[24:25], v[24:25], 2.0, -v[12:13]
	v_fma_f64 v[26:27], v[26:27], 2.0, -v[14:15]
	v_fmac_f64_e32 v[44:45], s[0:1], v[58:59]
	v_fmac_f64_e32 v[46:47], s[4:5], v[48:49]
	v_fma_f64 v[48:49], v[52:53], 2.0, -v[44:45]
	v_fma_f64 v[50:51], v[54:55], 2.0, -v[46:47]
	ds_write_b128 v2, v[24:27]
	ds_write_b128 v22, v[32:35]
	;; [unrolled: 1-line block ×5, first 2 shown]
	v_lshl_add_u32 v0, v11, 4, v19
	ds_write_b128 v0, v[28:31]
	v_lshl_add_u32 v0, v9, 4, v19
	ds_write_b128 v0, v[36:39]
	;; [unrolled: 2-line block ×3, first 2 shown]
	s_waitcnt lgkmcnt(0)
	s_barrier
	ds_read_b128 v[0:3], v18
	v_cmp_ne_u32_e64 s[0:1], 0, v16
                                        ; implicit-def: $vgpr14_vgpr15
                                        ; implicit-def: $vgpr12_vgpr13
	s_and_saveexec_b64 s[4:5], s[0:1]
	s_xor_b64 s[0:1], exec, s[4:5]
	s_cbranch_execz .LBB0_6
; %bb.5:
	global_load_dwordx4 v[24:27], v17, s[8:9] offset:1920
	ds_read_b128 v[12:15], v23 offset:2048
                                        ; implicit-def: $vgpr19
	s_waitcnt lgkmcnt(0)
	v_add_f64 v[28:29], v[0:1], v[12:13]
	v_add_f64 v[30:31], v[2:3], v[14:15]
	v_add_f64 v[0:1], v[0:1], -v[12:13]
	v_add_f64 v[2:3], v[2:3], -v[14:15]
	v_mul_f64 v[14:15], v[30:31], 0.5
	v_mul_f64 v[0:1], v[0:1], 0.5
	;; [unrolled: 1-line block ×3, first 2 shown]
	s_waitcnt vmcnt(0)
	v_mul_f64 v[30:31], v[0:1], v[26:27]
	v_fma_f64 v[32:33], v[14:15], v[26:27], v[2:3]
	v_fma_f64 v[2:3], v[14:15], v[26:27], -v[2:3]
	v_fma_f64 v[12:13], 0.5, v[28:29], v[30:31]
	v_fma_f64 v[26:27], -v[24:25], v[0:1], v[32:33]
	v_fma_f64 v[28:29], v[28:29], 0.5, -v[30:31]
	v_fma_f64 v[0:1], -v[24:25], v[0:1], v[2:3]
	v_fmac_f64_e32 v[12:13], v[14:15], v[24:25]
	ds_write_b64 v18, v[26:27] offset:8
	v_fma_f64 v[14:15], -v[14:15], v[24:25], v[28:29]
	ds_write_b64 v23, v[0:1] offset:2056
                                        ; implicit-def: $vgpr0_vgpr1
.LBB0_6:
	s_andn2_saveexec_b64 s[0:1], s[0:1]
	s_cbranch_execz .LBB0_8
; %bb.7:
	s_mov_b32 s4, 0
	s_mov_b32 s5, s4
	v_pk_mov_b32 v[12:13], s[4:5], s[4:5] op_sel:[0,1]
	ds_write_b64 v18, v[12:13] offset:8
	ds_write_b64 v23, v[12:13] offset:2056
	ds_read_b64 v[24:25], v19 offset:1032
	s_waitcnt lgkmcnt(3)
	v_add_f64 v[12:13], v[0:1], v[2:3]
	v_add_f64 v[14:15], v[0:1], -v[2:3]
	s_waitcnt lgkmcnt(0)
	v_xor_b32_e32 v25, 0x80000000, v25
	ds_write_b64 v19, v[24:25] offset:1032
.LBB0_8:
	s_or_b64 exec, exec, s[0:1]
	v_mov_b32_e32 v9, 0
	s_waitcnt lgkmcnt(0)
	v_lshlrev_b64 v[0:1], 4, v[8:9]
	v_mov_b32_e32 v8, s9
	v_add_co_u32_e64 v0, s[0:1], s8, v0
	v_addc_co_u32_e64 v1, s[0:1], v8, v1, s[0:1]
	global_load_dwordx4 v[0:3], v[0:1], off offset:1920
	v_mov_b32_e32 v11, v9
	v_lshlrev_b64 v[10:11], 4, v[10:11]
	v_add_co_u32_e64 v10, s[0:1], s8, v10
	v_addc_co_u32_e64 v11, s[0:1], v8, v11, s[0:1]
	global_load_dwordx4 v[24:27], v[10:11], off offset:1920
	v_mov_b32_e32 v7, v9
	v_lshlrev_b64 v[6:7], 4, v[6:7]
	v_add_co_u32_e64 v6, s[0:1], s8, v6
	v_addc_co_u32_e64 v7, s[0:1], v8, v7, s[0:1]
	global_load_dwordx4 v[6:9], v[6:7], off offset:1920
	ds_write_b64 v18, v[12:13]
	ds_write_b64 v23, v[14:15] offset:2048
	ds_read_b128 v[10:13], v22
	ds_read_b128 v[28:31], v23 offset:1792
	s_waitcnt lgkmcnt(0)
	v_add_f64 v[14:15], v[10:11], v[28:29]
	v_add_f64 v[10:11], v[10:11], -v[28:29]
	v_add_f64 v[32:33], v[12:13], v[30:31]
	v_add_f64 v[12:13], v[12:13], -v[30:31]
	v_mul_f64 v[10:11], v[10:11], 0.5
	v_mul_f64 v[28:29], v[32:33], 0.5
	v_mul_f64 v[12:13], v[12:13], 0.5
	s_waitcnt vmcnt(2)
	v_mul_f64 v[30:31], v[10:11], v[2:3]
	v_fma_f64 v[32:33], v[28:29], v[2:3], v[12:13]
	v_fma_f64 v[2:3], v[28:29], v[2:3], -v[12:13]
	v_fma_f64 v[12:13], 0.5, v[14:15], v[30:31]
	v_fma_f64 v[32:33], -v[0:1], v[10:11], v[32:33]
	v_fma_f64 v[14:15], v[14:15], 0.5, -v[30:31]
	v_fmac_f64_e32 v[12:13], v[28:29], v[0:1]
	v_fma_f64 v[2:3], -v[0:1], v[10:11], v[2:3]
	v_fma_f64 v[0:1], -v[28:29], v[0:1], v[14:15]
	ds_write2_b64 v22, v[12:13], v[32:33] offset1:1
	ds_write_b128 v23, v[0:3] offset:1792
	ds_read_b128 v[0:3], v21
	ds_read_b128 v[10:13], v23 offset:1536
	s_waitcnt lgkmcnt(0)
	v_add_f64 v[14:15], v[0:1], v[10:11]
	v_add_f64 v[0:1], v[0:1], -v[10:11]
	v_add_f64 v[28:29], v[2:3], v[12:13]
	v_add_f64 v[2:3], v[2:3], -v[12:13]
	v_mul_f64 v[0:1], v[0:1], 0.5
	v_mul_f64 v[10:11], v[28:29], 0.5
	v_mul_f64 v[2:3], v[2:3], 0.5
	s_waitcnt vmcnt(1)
	v_mul_f64 v[12:13], v[0:1], v[26:27]
	v_fma_f64 v[28:29], v[10:11], v[26:27], v[2:3]
	v_fma_f64 v[2:3], v[10:11], v[26:27], -v[2:3]
	v_fma_f64 v[26:27], 0.5, v[14:15], v[12:13]
	v_fma_f64 v[28:29], -v[24:25], v[0:1], v[28:29]
	v_fma_f64 v[12:13], v[14:15], 0.5, -v[12:13]
	v_fmac_f64_e32 v[26:27], v[10:11], v[24:25]
	v_fma_f64 v[2:3], -v[24:25], v[0:1], v[2:3]
	v_fma_f64 v[0:1], -v[10:11], v[24:25], v[12:13]
	ds_write2_b64 v21, v[26:27], v[28:29] offset1:1
	ds_write_b128 v23, v[0:3] offset:1536
	;; [unrolled: 22-line block ×3, first 2 shown]
	s_waitcnt lgkmcnt(0)
	s_barrier
	s_and_saveexec_b64 s[0:1], vcc
	s_cbranch_execz .LBB0_11
; %bb.9:
	v_mov_b32_e32 v1, s3
	v_add_co_u32_e32 v0, vcc, s2, v4
	v_addc_co_u32_e32 v1, vcc, v1, v5, vcc
	ds_read_b128 v[2:5], v18
	ds_read_b128 v[6:9], v18 offset:256
	ds_read_b128 v[10:13], v18 offset:512
	v_add_co_u32_e32 v14, vcc, v0, v17
	v_addc_co_u32_e32 v15, vcc, 0, v1, vcc
	s_waitcnt lgkmcnt(2)
	global_store_dwordx4 v[14:15], v[2:5], off
	s_waitcnt lgkmcnt(1)
	global_store_dwordx4 v[14:15], v[6:9], off offset:256
	s_waitcnt lgkmcnt(0)
	global_store_dwordx4 v[14:15], v[10:13], off offset:512
	ds_read_b128 v[2:5], v18 offset:768
	ds_read_b128 v[6:9], v18 offset:1024
	;; [unrolled: 1-line block ×5, first 2 shown]
	v_cmp_eq_u32_e32 vcc, 15, v16
	s_waitcnt lgkmcnt(4)
	global_store_dwordx4 v[14:15], v[2:5], off offset:768
	s_waitcnt lgkmcnt(3)
	global_store_dwordx4 v[14:15], v[6:9], off offset:1024
	;; [unrolled: 2-line block ×5, first 2 shown]
	s_and_b64 exec, exec, vcc
	s_cbranch_execz .LBB0_11
; %bb.10:
	ds_read_b128 v[2:5], v18 offset:1808
	s_waitcnt lgkmcnt(0)
	global_store_dwordx4 v[0:1], v[2:5], off offset:2048
.LBB0_11:
	s_endpgm
	.section	.rodata,"a",@progbits
	.p2align	6, 0x0
	.amdhsa_kernel fft_rtc_fwd_len128_factors_8_2_8_wgs_128_tpt_16_dim1_dp_ip_CI_unitstride_sbrr_R2C_dirReg
		.amdhsa_group_segment_fixed_size 0
		.amdhsa_private_segment_fixed_size 0
		.amdhsa_kernarg_size 80
		.amdhsa_user_sgpr_count 6
		.amdhsa_user_sgpr_private_segment_buffer 1
		.amdhsa_user_sgpr_dispatch_ptr 0
		.amdhsa_user_sgpr_queue_ptr 0
		.amdhsa_user_sgpr_kernarg_segment_ptr 1
		.amdhsa_user_sgpr_dispatch_id 0
		.amdhsa_user_sgpr_flat_scratch_init 0
		.amdhsa_user_sgpr_kernarg_preload_length 0
		.amdhsa_user_sgpr_kernarg_preload_offset 0
		.amdhsa_user_sgpr_private_segment_size 0
		.amdhsa_uses_dynamic_stack 0
		.amdhsa_system_sgpr_private_segment_wavefront_offset 0
		.amdhsa_system_sgpr_workgroup_id_x 1
		.amdhsa_system_sgpr_workgroup_id_y 0
		.amdhsa_system_sgpr_workgroup_id_z 0
		.amdhsa_system_sgpr_workgroup_info 0
		.amdhsa_system_vgpr_workitem_id 0
		.amdhsa_next_free_vgpr 64
		.amdhsa_next_free_sgpr 16
		.amdhsa_accum_offset 64
		.amdhsa_reserve_vcc 1
		.amdhsa_reserve_flat_scratch 0
		.amdhsa_float_round_mode_32 0
		.amdhsa_float_round_mode_16_64 0
		.amdhsa_float_denorm_mode_32 3
		.amdhsa_float_denorm_mode_16_64 3
		.amdhsa_dx10_clamp 1
		.amdhsa_ieee_mode 1
		.amdhsa_fp16_overflow 0
		.amdhsa_tg_split 0
		.amdhsa_exception_fp_ieee_invalid_op 0
		.amdhsa_exception_fp_denorm_src 0
		.amdhsa_exception_fp_ieee_div_zero 0
		.amdhsa_exception_fp_ieee_overflow 0
		.amdhsa_exception_fp_ieee_underflow 0
		.amdhsa_exception_fp_ieee_inexact 0
		.amdhsa_exception_int_div_zero 0
	.end_amdhsa_kernel
	.text
.Lfunc_end0:
	.size	fft_rtc_fwd_len128_factors_8_2_8_wgs_128_tpt_16_dim1_dp_ip_CI_unitstride_sbrr_R2C_dirReg, .Lfunc_end0-fft_rtc_fwd_len128_factors_8_2_8_wgs_128_tpt_16_dim1_dp_ip_CI_unitstride_sbrr_R2C_dirReg
                                        ; -- End function
	.section	.AMDGPU.csdata,"",@progbits
; Kernel info:
; codeLenInByte = 3568
; NumSgprs: 20
; NumVgprs: 64
; NumAgprs: 0
; TotalNumVgprs: 64
; ScratchSize: 0
; MemoryBound: 0
; FloatMode: 240
; IeeeMode: 1
; LDSByteSize: 0 bytes/workgroup (compile time only)
; SGPRBlocks: 2
; VGPRBlocks: 7
; NumSGPRsForWavesPerEU: 20
; NumVGPRsForWavesPerEU: 64
; AccumOffset: 64
; Occupancy: 8
; WaveLimiterHint : 1
; COMPUTE_PGM_RSRC2:SCRATCH_EN: 0
; COMPUTE_PGM_RSRC2:USER_SGPR: 6
; COMPUTE_PGM_RSRC2:TRAP_HANDLER: 0
; COMPUTE_PGM_RSRC2:TGID_X_EN: 1
; COMPUTE_PGM_RSRC2:TGID_Y_EN: 0
; COMPUTE_PGM_RSRC2:TGID_Z_EN: 0
; COMPUTE_PGM_RSRC2:TIDIG_COMP_CNT: 0
; COMPUTE_PGM_RSRC3_GFX90A:ACCUM_OFFSET: 15
; COMPUTE_PGM_RSRC3_GFX90A:TG_SPLIT: 0
	.text
	.p2alignl 6, 3212836864
	.fill 256, 4, 3212836864
	.type	__hip_cuid_55e9368b8cc2697a,@object ; @__hip_cuid_55e9368b8cc2697a
	.section	.bss,"aw",@nobits
	.globl	__hip_cuid_55e9368b8cc2697a
__hip_cuid_55e9368b8cc2697a:
	.byte	0                               ; 0x0
	.size	__hip_cuid_55e9368b8cc2697a, 1

	.ident	"AMD clang version 19.0.0git (https://github.com/RadeonOpenCompute/llvm-project roc-6.4.0 25133 c7fe45cf4b819c5991fe208aaa96edf142730f1d)"
	.section	".note.GNU-stack","",@progbits
	.addrsig
	.addrsig_sym __hip_cuid_55e9368b8cc2697a
	.amdgpu_metadata
---
amdhsa.kernels:
  - .agpr_count:     0
    .args:
      - .actual_access:  read_only
        .address_space:  global
        .offset:         0
        .size:           8
        .value_kind:     global_buffer
      - .actual_access:  read_only
        .address_space:  global
        .offset:         8
        .size:           8
        .value_kind:     global_buffer
      - .actual_access:  read_only
        .address_space:  global
        .offset:         16
        .size:           8
        .value_kind:     global_buffer
      - .offset:         24
        .size:           8
        .value_kind:     by_value
      - .actual_access:  read_only
        .address_space:  global
        .offset:         32
        .size:           8
        .value_kind:     global_buffer
      - .actual_access:  read_only
        .address_space:  global
        .offset:         40
        .size:           8
        .value_kind:     global_buffer
      - .offset:         48
        .size:           4
        .value_kind:     by_value
      - .actual_access:  read_only
        .address_space:  global
        .offset:         56
        .size:           8
        .value_kind:     global_buffer
      - .actual_access:  read_only
        .address_space:  global
        .offset:         64
        .size:           8
        .value_kind:     global_buffer
      - .address_space:  global
        .offset:         72
        .size:           8
        .value_kind:     global_buffer
    .group_segment_fixed_size: 0
    .kernarg_segment_align: 8
    .kernarg_segment_size: 80
    .language:       OpenCL C
    .language_version:
      - 2
      - 0
    .max_flat_workgroup_size: 128
    .name:           fft_rtc_fwd_len128_factors_8_2_8_wgs_128_tpt_16_dim1_dp_ip_CI_unitstride_sbrr_R2C_dirReg
    .private_segment_fixed_size: 0
    .sgpr_count:     20
    .sgpr_spill_count: 0
    .symbol:         fft_rtc_fwd_len128_factors_8_2_8_wgs_128_tpt_16_dim1_dp_ip_CI_unitstride_sbrr_R2C_dirReg.kd
    .uniform_work_group_size: 1
    .uses_dynamic_stack: false
    .vgpr_count:     64
    .vgpr_spill_count: 0
    .wavefront_size: 64
amdhsa.target:   amdgcn-amd-amdhsa--gfx90a
amdhsa.version:
  - 1
  - 2
...

	.end_amdgpu_metadata
